;; amdgpu-corpus repo=ROCm/rocFFT kind=compiled arch=gfx1030 opt=O3
	.text
	.amdgcn_target "amdgcn-amd-amdhsa--gfx1030"
	.amdhsa_code_object_version 6
	.protected	fft_rtc_fwd_len1280_factors_16_5_16_wgs_80_tpt_80_halfLds_sp_ip_CI_unitstride_sbrr_R2C_dirReg ; -- Begin function fft_rtc_fwd_len1280_factors_16_5_16_wgs_80_tpt_80_halfLds_sp_ip_CI_unitstride_sbrr_R2C_dirReg
	.globl	fft_rtc_fwd_len1280_factors_16_5_16_wgs_80_tpt_80_halfLds_sp_ip_CI_unitstride_sbrr_R2C_dirReg
	.p2align	8
	.type	fft_rtc_fwd_len1280_factors_16_5_16_wgs_80_tpt_80_halfLds_sp_ip_CI_unitstride_sbrr_R2C_dirReg,@function
fft_rtc_fwd_len1280_factors_16_5_16_wgs_80_tpt_80_halfLds_sp_ip_CI_unitstride_sbrr_R2C_dirReg: ; @fft_rtc_fwd_len1280_factors_16_5_16_wgs_80_tpt_80_halfLds_sp_ip_CI_unitstride_sbrr_R2C_dirReg
; %bb.0:
	s_clause 0x2
	s_load_dwordx4 s[8:11], s[4:5], 0x0
	s_load_dwordx2 s[2:3], s[4:5], 0x50
	s_load_dwordx2 s[12:13], s[4:5], 0x18
	v_mul_u32_u24_e32 v1, 0x334, v0
	v_mov_b32_e32 v3, 0
	v_add_nc_u32_sdwa v5, s6, v1 dst_sel:DWORD dst_unused:UNUSED_PAD src0_sel:DWORD src1_sel:WORD_1
	v_mov_b32_e32 v1, 0
	v_mov_b32_e32 v6, v3
	v_mov_b32_e32 v2, 0
	s_waitcnt lgkmcnt(0)
	v_cmp_lt_u64_e64 s0, s[10:11], 2
	s_and_b32 vcc_lo, exec_lo, s0
	s_cbranch_vccnz .LBB0_8
; %bb.1:
	s_load_dwordx2 s[0:1], s[4:5], 0x10
	v_mov_b32_e32 v1, 0
	s_add_u32 s6, s12, 8
	v_mov_b32_e32 v2, 0
	s_addc_u32 s7, s13, 0
	s_mov_b64 s[16:17], 1
	s_waitcnt lgkmcnt(0)
	s_add_u32 s14, s0, 8
	s_addc_u32 s15, s1, 0
.LBB0_2:                                ; =>This Inner Loop Header: Depth=1
	s_load_dwordx2 s[18:19], s[14:15], 0x0
                                        ; implicit-def: $vgpr7_vgpr8
	s_mov_b32 s0, exec_lo
	s_waitcnt lgkmcnt(0)
	v_or_b32_e32 v4, s19, v6
	v_cmpx_ne_u64_e32 0, v[3:4]
	s_xor_b32 s1, exec_lo, s0
	s_cbranch_execz .LBB0_4
; %bb.3:                                ;   in Loop: Header=BB0_2 Depth=1
	v_cvt_f32_u32_e32 v4, s18
	v_cvt_f32_u32_e32 v7, s19
	s_sub_u32 s0, 0, s18
	s_subb_u32 s20, 0, s19
	v_fmac_f32_e32 v4, 0x4f800000, v7
	v_rcp_f32_e32 v4, v4
	v_mul_f32_e32 v4, 0x5f7ffffc, v4
	v_mul_f32_e32 v7, 0x2f800000, v4
	v_trunc_f32_e32 v7, v7
	v_fmac_f32_e32 v4, 0xcf800000, v7
	v_cvt_u32_f32_e32 v7, v7
	v_cvt_u32_f32_e32 v4, v4
	v_mul_lo_u32 v8, s0, v7
	v_mul_hi_u32 v9, s0, v4
	v_mul_lo_u32 v10, s20, v4
	v_add_nc_u32_e32 v8, v9, v8
	v_mul_lo_u32 v9, s0, v4
	v_add_nc_u32_e32 v8, v8, v10
	v_mul_hi_u32 v10, v4, v9
	v_mul_lo_u32 v11, v4, v8
	v_mul_hi_u32 v12, v4, v8
	v_mul_hi_u32 v13, v7, v9
	v_mul_lo_u32 v9, v7, v9
	v_mul_hi_u32 v14, v7, v8
	v_mul_lo_u32 v8, v7, v8
	v_add_co_u32 v10, vcc_lo, v10, v11
	v_add_co_ci_u32_e32 v11, vcc_lo, 0, v12, vcc_lo
	v_add_co_u32 v9, vcc_lo, v10, v9
	v_add_co_ci_u32_e32 v9, vcc_lo, v11, v13, vcc_lo
	v_add_co_ci_u32_e32 v10, vcc_lo, 0, v14, vcc_lo
	v_add_co_u32 v8, vcc_lo, v9, v8
	v_add_co_ci_u32_e32 v9, vcc_lo, 0, v10, vcc_lo
	v_add_co_u32 v4, vcc_lo, v4, v8
	v_add_co_ci_u32_e32 v7, vcc_lo, v7, v9, vcc_lo
	v_mul_hi_u32 v8, s0, v4
	v_mul_lo_u32 v10, s20, v4
	v_mul_lo_u32 v9, s0, v7
	v_add_nc_u32_e32 v8, v8, v9
	v_mul_lo_u32 v9, s0, v4
	v_add_nc_u32_e32 v8, v8, v10
	v_mul_hi_u32 v10, v4, v9
	v_mul_lo_u32 v11, v4, v8
	v_mul_hi_u32 v12, v4, v8
	v_mul_hi_u32 v13, v7, v9
	v_mul_lo_u32 v9, v7, v9
	v_mul_hi_u32 v14, v7, v8
	v_mul_lo_u32 v8, v7, v8
	v_add_co_u32 v10, vcc_lo, v10, v11
	v_add_co_ci_u32_e32 v11, vcc_lo, 0, v12, vcc_lo
	v_add_co_u32 v9, vcc_lo, v10, v9
	v_add_co_ci_u32_e32 v9, vcc_lo, v11, v13, vcc_lo
	v_add_co_ci_u32_e32 v10, vcc_lo, 0, v14, vcc_lo
	v_add_co_u32 v8, vcc_lo, v9, v8
	v_add_co_ci_u32_e32 v9, vcc_lo, 0, v10, vcc_lo
	v_add_co_u32 v4, vcc_lo, v4, v8
	v_add_co_ci_u32_e32 v11, vcc_lo, v7, v9, vcc_lo
	v_mul_hi_u32 v13, v5, v4
	v_mad_u64_u32 v[9:10], null, v6, v4, 0
	v_mad_u64_u32 v[7:8], null, v5, v11, 0
	;; [unrolled: 1-line block ×3, first 2 shown]
	v_add_co_u32 v4, vcc_lo, v13, v7
	v_add_co_ci_u32_e32 v7, vcc_lo, 0, v8, vcc_lo
	v_add_co_u32 v4, vcc_lo, v4, v9
	v_add_co_ci_u32_e32 v4, vcc_lo, v7, v10, vcc_lo
	v_add_co_ci_u32_e32 v7, vcc_lo, 0, v12, vcc_lo
	v_add_co_u32 v4, vcc_lo, v4, v11
	v_add_co_ci_u32_e32 v9, vcc_lo, 0, v7, vcc_lo
	v_mul_lo_u32 v10, s19, v4
	v_mad_u64_u32 v[7:8], null, s18, v4, 0
	v_mul_lo_u32 v11, s18, v9
	v_sub_co_u32 v7, vcc_lo, v5, v7
	v_add3_u32 v8, v8, v11, v10
	v_sub_nc_u32_e32 v10, v6, v8
	v_subrev_co_ci_u32_e64 v10, s0, s19, v10, vcc_lo
	v_add_co_u32 v11, s0, v4, 2
	v_add_co_ci_u32_e64 v12, s0, 0, v9, s0
	v_sub_co_u32 v13, s0, v7, s18
	v_sub_co_ci_u32_e32 v8, vcc_lo, v6, v8, vcc_lo
	v_subrev_co_ci_u32_e64 v10, s0, 0, v10, s0
	v_cmp_le_u32_e32 vcc_lo, s18, v13
	v_cmp_eq_u32_e64 s0, s19, v8
	v_cndmask_b32_e64 v13, 0, -1, vcc_lo
	v_cmp_le_u32_e32 vcc_lo, s19, v10
	v_cndmask_b32_e64 v14, 0, -1, vcc_lo
	v_cmp_le_u32_e32 vcc_lo, s18, v7
	;; [unrolled: 2-line block ×3, first 2 shown]
	v_cndmask_b32_e64 v15, 0, -1, vcc_lo
	v_cmp_eq_u32_e32 vcc_lo, s19, v10
	v_cndmask_b32_e64 v7, v15, v7, s0
	v_cndmask_b32_e32 v10, v14, v13, vcc_lo
	v_add_co_u32 v13, vcc_lo, v4, 1
	v_add_co_ci_u32_e32 v14, vcc_lo, 0, v9, vcc_lo
	v_cmp_ne_u32_e32 vcc_lo, 0, v10
	v_cndmask_b32_e32 v8, v14, v12, vcc_lo
	v_cndmask_b32_e32 v10, v13, v11, vcc_lo
	v_cmp_ne_u32_e32 vcc_lo, 0, v7
	v_cndmask_b32_e32 v8, v9, v8, vcc_lo
	v_cndmask_b32_e32 v7, v4, v10, vcc_lo
.LBB0_4:                                ;   in Loop: Header=BB0_2 Depth=1
	s_andn2_saveexec_b32 s0, s1
	s_cbranch_execz .LBB0_6
; %bb.5:                                ;   in Loop: Header=BB0_2 Depth=1
	v_cvt_f32_u32_e32 v4, s18
	s_sub_i32 s1, 0, s18
	v_rcp_iflag_f32_e32 v4, v4
	v_mul_f32_e32 v4, 0x4f7ffffe, v4
	v_cvt_u32_f32_e32 v4, v4
	v_mul_lo_u32 v7, s1, v4
	v_mul_hi_u32 v7, v4, v7
	v_add_nc_u32_e32 v4, v4, v7
	v_mul_hi_u32 v4, v5, v4
	v_mul_lo_u32 v7, v4, s18
	v_add_nc_u32_e32 v8, 1, v4
	v_sub_nc_u32_e32 v7, v5, v7
	v_subrev_nc_u32_e32 v9, s18, v7
	v_cmp_le_u32_e32 vcc_lo, s18, v7
	v_cndmask_b32_e32 v7, v7, v9, vcc_lo
	v_cndmask_b32_e32 v4, v4, v8, vcc_lo
	v_cmp_le_u32_e32 vcc_lo, s18, v7
	v_add_nc_u32_e32 v8, 1, v4
	v_cndmask_b32_e32 v7, v4, v8, vcc_lo
	v_mov_b32_e32 v8, v3
.LBB0_6:                                ;   in Loop: Header=BB0_2 Depth=1
	s_or_b32 exec_lo, exec_lo, s0
	s_load_dwordx2 s[0:1], s[6:7], 0x0
	v_mul_lo_u32 v4, v8, s18
	v_mul_lo_u32 v11, v7, s19
	v_mad_u64_u32 v[9:10], null, v7, s18, 0
	s_add_u32 s16, s16, 1
	s_addc_u32 s17, s17, 0
	s_add_u32 s6, s6, 8
	s_addc_u32 s7, s7, 0
	;; [unrolled: 2-line block ×3, first 2 shown]
	v_add3_u32 v4, v10, v11, v4
	v_sub_co_u32 v5, vcc_lo, v5, v9
	v_sub_co_ci_u32_e32 v4, vcc_lo, v6, v4, vcc_lo
	s_waitcnt lgkmcnt(0)
	v_mul_lo_u32 v6, s1, v5
	v_mul_lo_u32 v4, s0, v4
	v_mad_u64_u32 v[1:2], null, s0, v5, v[1:2]
	v_cmp_ge_u64_e64 s0, s[16:17], s[10:11]
	s_and_b32 vcc_lo, exec_lo, s0
	v_add3_u32 v2, v6, v2, v4
	s_cbranch_vccnz .LBB0_9
; %bb.7:                                ;   in Loop: Header=BB0_2 Depth=1
	v_mov_b32_e32 v5, v7
	v_mov_b32_e32 v6, v8
	s_branch .LBB0_2
.LBB0_8:
	v_mov_b32_e32 v8, v6
	v_mov_b32_e32 v7, v5
.LBB0_9:
	s_lshl_b64 s[0:1], s[10:11], 3
	v_mul_hi_u32 v3, 0x3333334, v0
	s_add_u32 s0, s12, s0
	s_addc_u32 s1, s13, s1
	s_load_dwordx2 s[4:5], s[4:5], 0x20
	s_load_dwordx2 s[0:1], s[0:1], 0x0
	v_mul_u32_u24_e32 v3, 0x50, v3
	v_sub_nc_u32_e32 v40, v0, v3
	v_add_nc_u32_e32 v42, 0x50, v40
	v_add_nc_u32_e32 v49, 0xa0, v40
	;; [unrolled: 1-line block ×3, first 2 shown]
	s_waitcnt lgkmcnt(0)
	v_cmp_gt_u64_e32 vcc_lo, s[4:5], v[7:8]
	v_mul_lo_u32 v3, s0, v8
	v_mul_lo_u32 v4, s1, v7
	v_mad_u64_u32 v[0:1], null, s0, v7, v[1:2]
	v_cmp_le_u64_e64 s0, s[4:5], v[7:8]
	v_add3_u32 v1, v4, v1, v3
	s_and_saveexec_b32 s1, s0
	s_xor_b32 s0, exec_lo, s1
; %bb.10:
	v_add_nc_u32_e32 v42, 0x50, v40
	v_add_nc_u32_e32 v49, 0xa0, v40
	;; [unrolled: 1-line block ×3, first 2 shown]
; %bb.11:
	s_or_saveexec_b32 s1, s0
	v_lshlrev_b64 v[46:47], 3, v[0:1]
	v_lshl_add_u32 v58, v40, 3, 0
	v_or_b32_e32 v44, 0x280, v40
	s_xor_b32 exec_lo, exec_lo, s1
	s_cbranch_execz .LBB0_13
; %bb.12:
	v_mov_b32_e32 v41, 0
	v_add_co_u32 v22, s0, s2, v46
	v_add_co_ci_u32_e64 v23, s0, s3, v47, s0
	v_lshlrev_b64 v[0:1], 3, v[40:41]
	v_mov_b32_e32 v45, v41
	v_add_nc_u32_e32 v32, 0x800, v58
	v_add_nc_u32_e32 v33, 0xc00, v58
	;; [unrolled: 1-line block ×4, first 2 shown]
	v_add_co_u32 v0, s0, v22, v0
	v_add_co_ci_u32_e64 v1, s0, v23, v1, s0
	v_lshlrev_b64 v[14:15], 3, v[44:45]
	v_add_co_u32 v10, s0, 0x800, v0
	v_add_co_ci_u32_e64 v11, s0, 0, v1, s0
	v_add_co_u32 v12, s0, 0x1000, v0
	v_add_co_ci_u32_e64 v13, s0, 0, v1, s0
	;; [unrolled: 2-line block ×4, first 2 shown]
	s_clause 0x3
	global_load_dwordx2 v[2:3], v[0:1], off
	global_load_dwordx2 v[4:5], v[0:1], off offset:640
	global_load_dwordx2 v[6:7], v[0:1], off offset:1280
	;; [unrolled: 1-line block ×3, first 2 shown]
	v_add_co_u32 v0, s0, 0x2000, v0
	v_add_co_ci_u32_e64 v1, s0, 0, v1, s0
	s_clause 0xb
	global_load_dwordx2 v[16:17], v[10:11], off offset:512
	global_load_dwordx2 v[18:19], v[10:11], off offset:1152
	;; [unrolled: 1-line block ×6, first 2 shown]
	global_load_dwordx2 v[14:15], v[14:15], off
	global_load_dwordx2 v[12:13], v[12:13], off offset:1664
	global_load_dwordx2 v[22:23], v[22:23], off offset:1536
	;; [unrolled: 1-line block ×5, first 2 shown]
	v_add_nc_u32_e32 v36, 0x1c00, v58
	v_add_nc_u32_e32 v37, 0x2000, v58
	s_waitcnt vmcnt(14)
	ds_write2_b64 v58, v[2:3], v[4:5] offset1:80
	s_waitcnt vmcnt(12)
	ds_write2_b64 v58, v[6:7], v[8:9] offset0:160 offset1:240
	s_waitcnt vmcnt(10)
	ds_write2_b64 v32, v[16:17], v[18:19] offset0:64 offset1:144
	;; [unrolled: 2-line block ×4, first 2 shown]
	ds_write2_b64 v35, v[24:25], v[26:27] offset0:32 offset1:112
	s_waitcnt vmcnt(2)
	ds_write2_b64 v36, v[22:23], v[28:29] offset0:64 offset1:144
	s_waitcnt vmcnt(0)
	ds_write2_b64 v37, v[30:31], v[0:1] offset0:96 offset1:176
.LBB0_13:
	s_or_b32 exec_lo, exec_lo, s1
	v_add_nc_u32_e32 v32, 0x800, v58
	v_add_nc_u32_e32 v33, 0x1000, v58
	;; [unrolled: 1-line block ×6, first 2 shown]
	s_waitcnt lgkmcnt(0)
	s_barrier
	buffer_gl0_inv
	ds_read2_b64 v[0:3], v58 offset1:80
	ds_read2_b64 v[4:7], v32 offset0:64 offset1:144
	ds_read2_b64 v[8:11], v33 offset0:128 offset1:208
	;; [unrolled: 1-line block ×7, first 2 shown]
	s_waitcnt lgkmcnt(0)
	s_barrier
	buffer_gl0_inv
	v_lshl_add_u32 v60, v42, 3, 0
	v_lshl_add_u32 v59, v49, 3, 0
	v_cmp_gt_u32_e64 s0, 16, v40
	v_sub_f32_e32 v20, v16, v20
	v_sub_f32_e32 v8, v0, v8
	;; [unrolled: 1-line block ×8, first 2 shown]
	v_fma_f32 v0, v0, 2.0, -v8
	v_fma_f32 v4, v4, 2.0, -v12
	;; [unrolled: 1-line block ×3, first 2 shown]
	v_sub_f32_e32 v29, v25, v29
	v_fma_f32 v24, v24, 2.0, -v28
	v_sub_f32_e32 v15, v7, v15
	v_sub_f32_e32 v22, v18, v22
	;; [unrolled: 1-line block ×3, first 2 shown]
	v_fma_f32 v5, v5, 2.0, -v13
	v_fma_f32 v17, v17, 2.0, -v21
	v_sub_f32_e32 v11, v3, v11
	v_sub_f32_e32 v14, v6, v14
	v_fma_f32 v25, v25, 2.0, -v29
	v_sub_f32_e32 v23, v19, v23
	v_sub_f32_e32 v30, v26, v30
	v_fma_f32 v7, v7, 2.0, -v15
	v_sub_f32_e32 v4, v0, v4
	v_fma_f32 v27, v27, 2.0, -v31
	v_sub_f32_e32 v13, v8, v13
	v_add_f32_e32 v12, v9, v12
	v_sub_f32_e32 v24, v16, v24
	v_sub_f32_e32 v29, v20, v29
	v_add_f32_e32 v28, v21, v28
	v_sub_f32_e32 v15, v10, v15
	v_sub_f32_e32 v31, v22, v31
	v_fma_f32 v1, v1, 2.0, -v9
	v_fma_f32 v2, v2, 2.0, -v10
	;; [unrolled: 1-line block ×10, first 2 shown]
	v_sub_f32_e32 v25, v17, v25
	v_fma_f32 v16, v16, 2.0, -v24
	v_fma_f32 v20, v20, 2.0, -v29
	;; [unrolled: 1-line block ×3, first 2 shown]
	v_add_f32_e32 v14, v11, v14
	v_fma_f32 v10, v10, 2.0, -v15
	v_add_f32_e32 v30, v23, v30
	v_fma_f32 v22, v22, 2.0, -v31
	v_sub_f32_e32 v5, v1, v5
	v_sub_f32_e32 v6, v2, v6
	v_fma_f32 v17, v17, 2.0, -v25
	v_sub_f32_e32 v7, v3, v7
	v_sub_f32_e32 v26, v18, v26
	;; [unrolled: 1-line block ×3, first 2 shown]
	v_fma_f32 v11, v11, 2.0, -v14
	v_fmamk_f32 v36, v20, 0xbf3504f3, v8
	v_sub_f32_e32 v37, v0, v16
	v_fmamk_f32 v39, v21, 0xbf3504f3, v9
	v_fma_f32 v16, v23, 2.0, -v30
	v_sub_f32_e32 v43, v4, v25
	v_fmamk_f32 v52, v28, 0x3f3504f3, v12
	v_fmamk_f32 v25, v22, 0xbf3504f3, v10
	v_fma_f32 v1, v1, 2.0, -v5
	v_fma_f32 v2, v2, 2.0, -v6
	;; [unrolled: 1-line block ×5, first 2 shown]
	v_fmac_f32_e32 v36, 0xbf3504f3, v21
	v_fmac_f32_e32 v39, 0x3f3504f3, v20
	v_fmamk_f32 v41, v29, 0x3f3504f3, v13
	v_fmac_f32_e32 v52, 0x3f3504f3, v29
	v_fmamk_f32 v29, v16, 0xbf3504f3, v11
	v_fmac_f32_e32 v25, 0xbf3504f3, v16
	v_sub_f32_e32 v38, v1, v17
	v_fma_f32 v20, v8, 2.0, -v36
	v_add_f32_e32 v45, v5, v24
	v_fma_f32 v21, v9, 2.0, -v39
	v_sub_f32_e32 v18, v2, v18
	v_sub_f32_e32 v19, v3, v19
	v_fmac_f32_e32 v29, 0x3f3504f3, v22
	v_fma_f32 v9, v10, 2.0, -v25
	v_fmamk_f32 v53, v31, 0x3f3504f3, v15
	v_sub_f32_e32 v27, v6, v27
	v_add_f32_e32 v26, v7, v26
	v_fmamk_f32 v54, v30, 0x3f3504f3, v14
	v_fma_f32 v17, v1, 2.0, -v38
	v_fmac_f32_e32 v41, 0xbf3504f3, v28
	v_fma_f32 v23, v4, 2.0, -v43
	v_fma_f32 v24, v5, 2.0, -v45
	;; [unrolled: 1-line block ×6, first 2 shown]
	v_fmac_f32_e32 v53, 0xbf3504f3, v30
	v_fma_f32 v10, v6, 2.0, -v27
	v_fma_f32 v12, v7, 2.0, -v26
	v_fmamk_f32 v3, v9, 0xbf6c835e, v20
	v_fmac_f32_e32 v54, 0x3f3504f3, v31
	v_fma_f32 v28, v13, 2.0, -v41
	v_fma_f32 v15, v15, 2.0, -v53
	v_fmamk_f32 v4, v8, 0xbf6c835e, v21
	v_fmac_f32_e32 v3, 0xbec3ef15, v8
	v_fmamk_f32 v7, v10, 0xbf3504f3, v23
	v_fmamk_f32 v8, v12, 0xbf3504f3, v24
	v_fma_f32 v13, v14, 2.0, -v54
	v_sub_f32_e32 v2, v17, v2
	v_fmac_f32_e32 v4, 0x3ec3ef15, v9
	v_fmamk_f32 v9, v15, 0xbec3ef15, v28
	v_fmac_f32_e32 v7, 0xbf3504f3, v12
	v_fmac_f32_e32 v8, 0x3f3504f3, v10
	v_fma_f32 v0, v0, 2.0, -v37
	v_fmamk_f32 v10, v13, 0xbec3ef15, v16
	v_fma_f32 v6, v17, 2.0, -v2
	v_fma_f32 v11, v20, 2.0, -v3
	v_sub_f32_e32 v17, v37, v19
	v_fmamk_f32 v19, v25, 0x3ec3ef15, v36
	v_fmamk_f32 v20, v29, 0x3ec3ef15, v39
	v_fmac_f32_e32 v9, 0xbf6c835e, v13
	v_fma_f32 v13, v23, 2.0, -v7
	v_fma_f32 v14, v24, 2.0, -v8
	v_fmamk_f32 v23, v27, 0x3f3504f3, v43
	v_fmamk_f32 v24, v26, 0x3f3504f3, v45
	v_fmamk_f32 v50, v53, 0x3f6c835e, v41
	v_fmamk_f32 v51, v54, 0x3f6c835e, v52
	v_sub_f32_e32 v1, v0, v1
	v_fmac_f32_e32 v10, 0x3f6c835e, v15
	v_add_f32_e32 v18, v38, v18
	v_fmac_f32_e32 v19, 0xbf6c835e, v29
	v_fmac_f32_e32 v20, 0x3f6c835e, v25
	;; [unrolled: 1-line block ×6, first 2 shown]
	v_fma_f32 v5, v0, 2.0, -v1
	v_fma_f32 v12, v21, 2.0, -v4
	v_mad_u32_u24 v0, 0x78, v40, v58
	v_fma_f32 v15, v28, 2.0, -v9
	v_fma_f32 v16, v16, 2.0, -v10
	;; [unrolled: 1-line block ×10, first 2 shown]
	ds_write2_b64 v0, v[5:6], v[11:12] offset1:1
	ds_write2_b64 v0, v[13:14], v[15:16] offset0:2 offset1:3
	ds_write2_b64 v0, v[21:22], v[25:26] offset0:4 offset1:5
	ds_write2_b64 v0, v[27:28], v[29:30] offset0:6 offset1:7
	ds_write2_b64 v0, v[1:2], v[3:4] offset0:8 offset1:9
	ds_write2_b64 v0, v[7:8], v[9:10] offset0:10 offset1:11
	ds_write2_b64 v0, v[17:18], v[19:20] offset0:12 offset1:13
	ds_write2_b64 v0, v[23:24], v[50:51] offset0:14 offset1:15
	v_add_nc_u32_e32 v1, 0x1400, v58
	s_waitcnt lgkmcnt(0)
	s_barrier
	buffer_gl0_inv
	ds_read2st64_b64 v[8:11], v58 offset1:4
	ds_read2_b64 v[16:19], v33 offset1:80
	ds_read2_b64 v[12:15], v1 offset0:32 offset1:128
	ds_read2_b64 v[28:31], v35 offset1:80
	ds_read2_b64 v[24:27], v32 offset0:80 offset1:160
	ds_read2_b64 v[20:23], v34 offset0:80 offset1:160
	ds_read_b64 v[54:55], v60
	ds_read_b64 v[52:53], v59
	ds_read_b64 v[56:57], v58 offset:9472
	v_lshl_add_u32 v45, v48, 3, 0
                                        ; implicit-def: $vgpr7
                                        ; implicit-def: $vgpr3
	s_and_saveexec_b32 s1, s0
	s_cbranch_execz .LBB0_15
; %bb.14:
	v_mad_i32_i24 v0, 0xffffff88, v40, v0
	v_add_nc_u32_e32 v4, 0x180, v0
	ds_read_b64 v[50:51], v45
	ds_read2st64_b64 v[0:3], v4 offset0:7 offset1:11
	ds_read2st64_b64 v[4:7], v4 offset0:15 offset1:19
.LBB0_15:
	s_or_b32 exec_lo, exec_lo, s1
	v_and_b32_e32 v41, 15, v40
	v_lshrrev_b32_e32 v62, 4, v40
	v_lshrrev_b32_e32 v43, 4, v42
	;; [unrolled: 1-line block ×3, first 2 shown]
	v_lshlrev_b32_e32 v32, 5, v41
	v_mul_u32_u24_e32 v62, 0x50, v62
	v_mul_lo_u32 v43, 0x50, v43
	v_mul_lo_u32 v61, 0x50, v61
	s_clause 0x1
	global_load_dwordx4 v[36:39], v32, s[8:9]
	global_load_dwordx4 v[32:35], v32, s[8:9] offset:16
	v_or_b32_e32 v62, v62, v41
	s_waitcnt vmcnt(0) lgkmcnt(0)
	s_barrier
	buffer_gl0_inv
	v_or_b32_e32 v43, v43, v41
	v_or_b32_e32 v41, v61, v41
	v_lshl_add_u32 v61, v62, 3, 0
	v_lshl_add_u32 v43, v43, 3, 0
	v_lshl_add_u32 v41, v41, 3, 0
	v_mul_f32_e32 v62, v37, v11
	v_mul_f32_e32 v63, v39, v17
	;; [unrolled: 1-line block ×19, first 2 shown]
	v_fma_f32 v16, v38, v16, -v63
	v_fmac_f32_e32 v64, v38, v17
	v_fmac_f32_e32 v68, v34, v29
	;; [unrolled: 1-line block ×4, first 2 shown]
	v_fma_f32 v25, v32, v14, -v75
	v_fmac_f32_e32 v77, v32, v15
	v_mul_f32_e32 v70, v35, v30
	v_mul_f32_e32 v39, v39, v12
	;; [unrolled: 1-line block ×5, first 2 shown]
	v_fma_f32 v17, v38, v18, -v65
	v_fma_f32 v28, v34, v28, -v67
	;; [unrolled: 1-line block ×4, first 2 shown]
	v_fmac_f32_e32 v66, v38, v19
	v_fma_f32 v30, v34, v30, -v69
	v_fma_f32 v19, v36, v26, -v73
	v_fmac_f32_e32 v74, v36, v27
	v_fma_f32 v24, v38, v12, -v76
	v_fma_f32 v20, v32, v20, -v78
	v_fmac_f32_e32 v79, v32, v21
	v_fma_f32 v21, v22, v32, -v80
	v_add_f32_e32 v11, v16, v25
	v_add_f32_e32 v26, v64, v77
	;; [unrolled: 1-line block ×3, first 2 shown]
	v_fmac_f32_e32 v70, v34, v31
	v_fmac_f32_e32 v39, v38, v13
	;; [unrolled: 1-line block ×3, first 2 shown]
	v_fma_f32 v32, v56, v34, -v81
	v_fmac_f32_e32 v35, v57, v34
	v_add_f32_e32 v12, v8, v10
	v_add_f32_e32 v15, v10, v28
	;; [unrolled: 1-line block ×4, first 2 shown]
	v_sub_f32_e32 v13, v10, v16
	v_sub_f32_e32 v14, v28, v25
	;; [unrolled: 1-line block ×3, first 2 shown]
	v_add_f32_e32 v27, v9, v37
	v_sub_f32_e32 v71, v10, v28
	v_sub_f32_e32 v81, v18, v17
	;; [unrolled: 1-line block ×4, first 2 shown]
	v_add_f32_e32 v86, v18, v30
	v_sub_f32_e32 v87, v18, v30
	v_add_f32_e32 v18, v24, v21
	v_fma_f32 v10, -0.5, v11, v8
	v_fma_f32 v11, -0.5, v26, v9
	;; [unrolled: 1-line block ×3, first 2 shown]
	v_add_f32_e32 v29, v52, v19
	v_add_f32_e32 v93, v53, v74
	;; [unrolled: 1-line block ×4, first 2 shown]
	v_sub_f32_e32 v23, v25, v28
	v_add_f32_e32 v78, v72, v70
	v_sub_f32_e32 v31, v37, v64
	v_sub_f32_e32 v34, v68, v77
	;; [unrolled: 1-line block ×10, first 2 shown]
	v_fma_f32 v8, -0.5, v15, v8
	v_sub_f32_e32 v15, v32, v21
	v_add_f32_e32 v26, v19, v32
	v_add_f32_e32 v16, v12, v16
	;; [unrolled: 1-line block ×6, first 2 shown]
	v_sub_f32_e32 v65, v64, v77
	v_sub_f32_e32 v73, v66, v72
	;; [unrolled: 1-line block ×4, first 2 shown]
	v_add_f32_e32 v27, v27, v64
	v_sub_f32_e32 v64, v74, v39
	v_sub_f32_e32 v66, v35, v33
	v_add_f32_e32 v92, v13, v14
	v_add_f32_e32 v81, v81, v84
	v_sub_f32_e32 v84, v19, v32
	v_fma_f32 v14, -0.5, v18, v52
	v_add_f32_e32 v18, v29, v24
	v_add_f32_e32 v19, v93, v39
	v_sub_f32_e32 v72, v72, v70
	v_fma_f32 v12, -0.5, v80, v54
	v_fma_f32 v13, -0.5, v63, v55
	v_add_f32_e32 v94, v22, v23
	v_sub_f32_e32 v22, v39, v74
	v_sub_f32_e32 v23, v33, v35
	v_fma_f32 v54, -0.5, v86, v54
	v_fmac_f32_e32 v55, -0.5, v78
	v_add_f32_e32 v34, v31, v34
	v_add_f32_e32 v36, v36, v38
	v_sub_f32_e32 v38, v24, v21
	v_sub_f32_e32 v80, v39, v33
	;; [unrolled: 1-line block ×3, first 2 shown]
	v_add_f32_e32 v63, v67, v69
	v_add_f32_e32 v69, v88, v15
	v_fma_f32 v52, -0.5, v26, v52
	v_fma_f32 v15, -0.5, v91, v53
	v_fmac_f32_e32 v53, -0.5, v56
	v_add_f32_e32 v31, v16, v25
	v_add_f32_e32 v39, v57, v79
	;; [unrolled: 1-line block ×3, first 2 shown]
	v_fmamk_f32 v16, v37, 0x3f737871, v10
	v_fmamk_f32 v17, v71, 0xbf737871, v11
	v_add_f32_e32 v64, v64, v66
	v_add_f32_e32 v66, v18, v21
	;; [unrolled: 1-line block ×3, first 2 shown]
	v_fmamk_f32 v18, v65, 0xbf737871, v8
	v_fmac_f32_e32 v8, 0x3f737871, v65
	v_fmamk_f32 v19, v62, 0x3f737871, v9
	v_fmac_f32_e32 v9, 0xbf737871, v62
	v_fmac_f32_e32 v10, 0xbf737871, v37
	;; [unrolled: 1-line block ×3, first 2 shown]
	v_sub_f32_e32 v85, v20, v30
	v_sub_f32_e32 v90, v21, v32
	v_fmamk_f32 v20, v72, 0x3f737871, v12
	v_fmamk_f32 v21, v87, 0xbf737871, v13
	v_sub_f32_e32 v76, v79, v70
	v_add_f32_e32 v56, v22, v23
	v_fmamk_f32 v22, v75, 0xbf737871, v54
	v_fmac_f32_e32 v54, 0x3f737871, v75
	v_fmamk_f32 v23, v83, 0x3f737871, v55
	v_fmac_f32_e32 v55, 0xbf737871, v83
	v_add_f32_e32 v29, v27, v77
	v_fmac_f32_e32 v12, 0xbf737871, v72
	v_fmac_f32_e32 v13, 0x3f737871, v87
	v_fmamk_f32 v24, v74, 0x3f737871, v14
	v_fmac_f32_e32 v14, 0xbf737871, v74
	v_fmamk_f32 v26, v80, 0xbf737871, v52
	;; [unrolled: 2-line block ×4, first 2 shown]
	v_fmac_f32_e32 v53, 0xbf737871, v38
	v_fmac_f32_e32 v16, 0x3f167918, v65
	v_fmac_f32_e32 v17, 0xbf167918, v62
	v_fmac_f32_e32 v18, 0x3f167918, v37
	v_fmac_f32_e32 v8, 0xbf167918, v37
	v_fmac_f32_e32 v19, 0xbf167918, v71
	v_fmac_f32_e32 v9, 0x3f167918, v71
	v_fmac_f32_e32 v10, 0xbf167918, v65
	v_fmac_f32_e32 v11, 0x3f167918, v62
	v_fmac_f32_e32 v20, 0x3f167918, v75
	v_fmac_f32_e32 v21, 0xbf167918, v83
	v_add_f32_e32 v82, v82, v85
	v_add_f32_e32 v67, v73, v76
	v_fmac_f32_e32 v22, 0x3f167918, v72
	v_fmac_f32_e32 v54, 0xbf167918, v72
	;; [unrolled: 1-line block ×4, first 2 shown]
	v_add_f32_e32 v73, v89, v90
	v_add_f32_e32 v29, v29, v68
	;; [unrolled: 1-line block ×3, first 2 shown]
	v_fmac_f32_e32 v12, 0xbf167918, v75
	v_fmac_f32_e32 v13, 0x3f167918, v83
	;; [unrolled: 1-line block ×18, first 2 shown]
	v_add_f32_e32 v31, v39, v70
	v_add_f32_e32 v30, v57, v30
	v_fmac_f32_e32 v20, 0x3e9e377a, v81
	v_fmac_f32_e32 v21, 0x3e9e377a, v63
	;; [unrolled: 1-line block ×6, first 2 shown]
	v_add_f32_e32 v32, v66, v32
	v_add_f32_e32 v33, v33, v35
	v_fmac_f32_e32 v12, 0x3e9e377a, v81
	v_fmac_f32_e32 v13, 0x3e9e377a, v63
	;; [unrolled: 1-line block ×10, first 2 shown]
	ds_write2_b64 v61, v[28:29], v[16:17] offset1:16
	ds_write2_b64 v61, v[18:19], v[8:9] offset0:32 offset1:48
	ds_write_b64 v61, v[10:11] offset:512
	ds_write2_b64 v43, v[30:31], v[20:21] offset1:16
	ds_write2_b64 v43, v[22:23], v[54:55] offset0:32 offset1:48
	ds_write_b64 v43, v[12:13] offset:512
	;; [unrolled: 3-line block ×3, first 2 shown]
	s_and_saveexec_b32 s1, s0
	s_cbranch_execz .LBB0_17
; %bb.16:
	v_lshlrev_b32_e32 v8, 5, v40
	v_add_nc_u32_e32 v16, 0x2000, v58
	v_and_b32_e32 v12, 0x1e0, v8
	s_clause 0x1
	global_load_dwordx4 v[8:11], v12, s[8:9]
	global_load_dwordx4 v[12:15], v12, s[8:9] offset:16
	s_waitcnt vmcnt(1)
	v_mul_f32_e32 v17, v2, v11
	v_mul_f32_e32 v18, v0, v9
	s_waitcnt vmcnt(0)
	v_mul_f32_e32 v19, v4, v13
	v_mul_f32_e32 v20, v6, v15
	;; [unrolled: 1-line block ×6, first 2 shown]
	v_fmac_f32_e32 v17, v3, v10
	v_fmac_f32_e32 v18, v1, v8
	;; [unrolled: 1-line block ×4, first 2 shown]
	v_fma_f32 v0, v0, v8, -v9
	v_fma_f32 v5, v2, v10, -v11
	;; [unrolled: 1-line block ×4, first 2 shown]
	v_sub_f32_e32 v1, v17, v18
	v_sub_f32_e32 v2, v19, v20
	v_add_f32_e32 v3, v18, v20
	v_add_f32_e32 v7, v17, v19
	;; [unrolled: 1-line block ×3, first 2 shown]
	v_sub_f32_e32 v4, v18, v17
	v_sub_f32_e32 v6, v20, v19
	v_add_f32_e32 v12, v51, v18
	v_add_f32_e32 v15, v0, v8
	v_sub_f32_e32 v10, v0, v8
	v_sub_f32_e32 v13, v5, v0
	v_sub_f32_e32 v14, v9, v8
	v_sub_f32_e32 v18, v18, v20
	v_add_f32_e32 v25, v50, v0
	v_add_f32_e32 v26, v1, v2
	v_fma_f32 v1, -0.5, v3, v51
	v_fma_f32 v3, -0.5, v7, v51
	;; [unrolled: 1-line block ×3, first 2 shown]
	v_sub_f32_e32 v11, v5, v9
	v_sub_f32_e32 v21, v17, v19
	;; [unrolled: 1-line block ×3, first 2 shown]
	v_add_f32_e32 v27, v4, v6
	v_add_f32_e32 v4, v12, v17
	v_fma_f32 v0, -0.5, v15, v50
	v_sub_f32_e32 v23, v8, v9
	v_add_f32_e32 v12, v13, v14
	v_add_f32_e32 v14, v25, v5
	v_fmamk_f32 v7, v10, 0x3f737871, v3
	v_fmac_f32_e32 v3, 0xbf737871, v10
	v_fmamk_f32 v6, v18, 0xbf737871, v2
	v_fmac_f32_e32 v2, 0x3f737871, v18
	;; [unrolled: 2-line block ×3, first 2 shown]
	v_add_f32_e32 v15, v4, v19
	v_fmamk_f32 v4, v21, 0x3f737871, v0
	v_fmac_f32_e32 v0, 0xbf737871, v21
	v_add_f32_e32 v13, v22, v23
	v_add_f32_e32 v14, v14, v9
	v_fmac_f32_e32 v3, 0xbf167918, v11
	v_fmac_f32_e32 v2, 0x3f167918, v21
	;; [unrolled: 1-line block ×8, first 2 shown]
	v_add_f32_e32 v9, v15, v20
	v_add_f32_e32 v8, v14, v8
	v_fmac_f32_e32 v3, 0x3e9e377a, v27
	v_fmac_f32_e32 v2, 0x3e9e377a, v13
	;; [unrolled: 1-line block ×8, first 2 shown]
	ds_write2_b64 v16, v[8:9], v[2:3] offset0:176 offset1:192
	ds_write2_b64 v16, v[0:1], v[4:5] offset0:208 offset1:224
	ds_write_b64 v58, v[6:7] offset:10112
.LBB0_17:
	s_or_b32 exec_lo, exec_lo, s1
	v_mul_u32_u24_e32 v0, 15, v40
	s_waitcnt lgkmcnt(0)
	s_barrier
	buffer_gl0_inv
	v_add_nc_u32_e32 v41, 0x800, v58
	v_lshlrev_b32_e32 v28, 3, v0
	v_add_nc_u32_e32 v43, 0x1000, v58
	v_add_nc_u32_e32 v50, 0x1400, v58
	;; [unrolled: 1-line block ×4, first 2 shown]
	s_clause 0x7
	global_load_dwordx4 v[0:3], v28, s[8:9] offset:544
	global_load_dwordx4 v[4:7], v28, s[8:9] offset:512
	;; [unrolled: 1-line block ×7, first 2 shown]
	global_load_dwordx2 v[65:66], v28, s[8:9] offset:624
	ds_read2_b64 v[28:31], v41 offset0:144 offset1:224
	ds_read2st64_b64 v[32:35], v58 offset1:5
	ds_read_b64 v[67:68], v60
	ds_read2_b64 v[36:39], v43 offset0:48 offset1:128
	ds_read_b64 v[69:70], v59
	ds_read_b64 v[71:72], v45
	ds_read_b64 v[73:74], v58 offset:9600
	ds_read2_b64 v[50:53], v50 offset0:80 offset1:160
	ds_read2_b64 v[54:57], v75 offset0:112 offset1:192
	;; [unrolled: 1-line block ×3, first 2 shown]
	v_add_nc_u32_e32 v77, 0xc00, v58
	v_add_nc_u32_e32 v78, 0x1c00, v58
	s_waitcnt vmcnt(0) lgkmcnt(0)
	s_barrier
	buffer_gl0_inv
	s_add_u32 s1, s8, 0x2780
	s_addc_u32 s4, s9, 0
	s_mov_b32 s5, exec_lo
	v_mul_f32_e32 v79, v29, v1
	v_mul_f32_e32 v1, v28, v1
	;; [unrolled: 1-line block ×18, first 2 shown]
	v_fma_f32 v28, v28, v0, -v79
	v_fmac_f32_e32 v1, v29, v0
	v_fma_f32 v0, v30, v2, -v80
	v_fmac_f32_e32 v3, v31, v2
	v_mul_f32_e32 v2, v53, v19
	v_mul_f32_e32 v19, v52, v19
	;; [unrolled: 1-line block ×8, first 2 shown]
	v_fma_f32 v36, v36, v8, -v82
	v_fmac_f32_e32 v9, v37, v8
	v_fma_f32 v8, v38, v10, -v83
	v_fmac_f32_e32 v11, v39, v10
	v_mul_f32_e32 v10, v64, v27
	v_mul_f32_e32 v27, v63, v27
	;; [unrolled: 1-line block ×4, first 2 shown]
	v_fma_f32 v39, v4, v67, -v81
	v_fmac_f32_e32 v5, v4, v68
	v_fma_f32 v4, v6, v69, -v84
	v_fmac_f32_e32 v7, v6, v70
	;; [unrolled: 2-line block ×11, first 2 shown]
	v_sub_f32_e32 v8, v32, v8
	v_sub_f32_e32 v11, v33, v11
	;; [unrolled: 1-line block ×16, first 2 shown]
	v_fma_f32 v27, v32, 2.0, -v8
	v_fma_f32 v29, v33, 2.0, -v11
	;; [unrolled: 1-line block ×14, first 2 shown]
	v_sub_f32_e32 v23, v8, v23
	v_add_f32_e32 v18, v11, v18
	v_sub_f32_e32 v24, v2, v24
	v_add_f32_e32 v10, v19, v10
	;; [unrolled: 2-line block ×4, first 2 shown]
	v_fma_f32 v5, v5, 2.0, -v17
	v_fma_f32 v13, v13, 2.0, -v21
	v_sub_f32_e32 v12, v27, v12
	v_sub_f32_e32 v15, v29, v15
	v_fma_f32 v8, v8, 2.0, -v23
	v_fma_f32 v11, v11, 2.0, -v18
	v_sub_f32_e32 v0, v4, v0
	v_sub_f32_e32 v3, v7, v3
	v_fma_f32 v2, v2, 2.0, -v24
	v_fma_f32 v19, v19, 2.0, -v10
	v_sub_f32_e32 v28, v30, v28
	v_fma_f32 v14, v14, 2.0, -v25
	v_fma_f32 v17, v17, 2.0, -v20
	v_sub_f32_e32 v31, v6, v31
	v_fma_f32 v16, v16, 2.0, -v26
	v_fma_f32 v21, v21, 2.0, -v22
	v_fmamk_f32 v33, v10, 0x3f3504f3, v18
	v_sub_f32_e32 v1, v5, v1
	v_sub_f32_e32 v9, v13, v9
	v_fmamk_f32 v32, v24, 0x3f3504f3, v23
	v_fmamk_f32 v34, v26, 0x3f3504f3, v25
	;; [unrolled: 1-line block ×3, first 2 shown]
	v_fma_f32 v27, v27, 2.0, -v12
	v_fma_f32 v29, v29, 2.0, -v15
	;; [unrolled: 1-line block ×6, first 2 shown]
	v_fmamk_f32 v36, v2, 0xbf3504f3, v8
	v_fmamk_f32 v37, v19, 0xbf3504f3, v11
	v_fmac_f32_e32 v33, 0x3f3504f3, v24
	v_fmamk_f32 v24, v16, 0xbf3504f3, v14
	v_fmamk_f32 v50, v21, 0xbf3504f3, v17
	v_fma_f32 v5, v5, 2.0, -v1
	v_fma_f32 v13, v13, 2.0, -v9
	v_sub_f32_e32 v38, v12, v3
	v_add_f32_e32 v39, v15, v0
	v_fmac_f32_e32 v32, 0xbf3504f3, v10
	v_sub_f32_e32 v51, v28, v9
	v_add_f32_e32 v31, v1, v31
	v_fmac_f32_e32 v34, 0xbf3504f3, v22
	v_fmac_f32_e32 v35, 0x3f3504f3, v26
	v_sub_f32_e32 v22, v27, v4
	v_sub_f32_e32 v26, v29, v7
	v_fmac_f32_e32 v36, 0xbf3504f3, v19
	v_fmac_f32_e32 v37, 0x3f3504f3, v2
	v_sub_f32_e32 v9, v30, v6
	v_fmac_f32_e32 v24, 0xbf3504f3, v21
	v_fmac_f32_e32 v50, 0x3f3504f3, v16
	v_fma_f32 v52, v12, 2.0, -v38
	v_fma_f32 v53, v15, 2.0, -v39
	;; [unrolled: 1-line block ×4, first 2 shown]
	v_sub_f32_e32 v10, v5, v13
	v_fma_f32 v16, v28, 2.0, -v51
	v_fma_f32 v18, v1, 2.0, -v31
	;; [unrolled: 1-line block ×4, first 2 shown]
	v_fmamk_f32 v0, v51, 0x3f3504f3, v38
	v_fmamk_f32 v1, v31, 0x3f3504f3, v39
	v_fmamk_f32 v2, v34, 0x3f6c835e, v32
	v_fmamk_f32 v3, v35, 0x3f6c835e, v33
	v_fma_f32 v25, v27, 2.0, -v22
	v_fma_f32 v27, v29, 2.0, -v26
	;; [unrolled: 1-line block ×8, first 2 shown]
	v_fmamk_f32 v4, v16, 0xbf3504f3, v52
	v_fmamk_f32 v5, v18, 0xbf3504f3, v53
	;; [unrolled: 1-line block ×4, first 2 shown]
	v_sub_f32_e32 v8, v22, v10
	v_fmamk_f32 v10, v24, 0x3ec3ef15, v36
	v_fmamk_f32 v11, v50, 0x3ec3ef15, v37
	v_fmac_f32_e32 v0, 0xbf3504f3, v31
	v_fmac_f32_e32 v1, 0x3f3504f3, v51
	;; [unrolled: 1-line block ×4, first 2 shown]
	v_fmamk_f32 v14, v30, 0xbf6c835e, v28
	v_fmamk_f32 v15, v55, 0xbf6c835e, v29
	v_fmac_f32_e32 v4, 0xbf3504f3, v18
	v_fmac_f32_e32 v5, 0x3f3504f3, v16
	;; [unrolled: 1-line block ×4, first 2 shown]
	v_add_f32_e32 v9, v26, v9
	v_sub_f32_e32 v12, v25, v12
	v_fmac_f32_e32 v10, 0xbf6c835e, v50
	v_fmac_f32_e32 v11, 0x3f6c835e, v24
	v_sub_f32_e32 v13, v27, v13
	v_fma_f32 v18, v38, 2.0, -v0
	v_fma_f32 v19, v39, 2.0, -v1
	;; [unrolled: 1-line block ×4, first 2 shown]
	v_fmac_f32_e32 v14, 0xbec3ef15, v55
	v_fmac_f32_e32 v15, 0x3ec3ef15, v30
	v_fma_f32 v16, v22, 2.0, -v8
	ds_write2_b64 v76, v[0:1], v[2:3] offset0:96 offset1:176
	v_fma_f32 v2, v52, 2.0, -v4
	v_fma_f32 v3, v53, 2.0, -v5
	;; [unrolled: 1-line block ×9, first 2 shown]
	ds_write2_b64 v77, v[18:19], v[20:21] offset0:96 offset1:176
	ds_write2_b64 v75, v[4:5], v[6:7] offset0:32 offset1:112
	v_fma_f32 v4, v28, 2.0, -v14
	v_fma_f32 v5, v29, 2.0, -v15
	ds_write2_b64 v78, v[8:9], v[10:11] offset0:64 offset1:144
	ds_write2_b64 v58, v[2:3], v[22:23] offset0:160 offset1:240
	;; [unrolled: 1-line block ×4, first 2 shown]
	ds_write2_b64 v58, v[0:1], v[4:5] offset1:80
	s_waitcnt lgkmcnt(0)
	s_barrier
	buffer_gl0_inv
	ds_read_b64 v[2:3], v58
	v_lshlrev_b32_e32 v0, 3, v40
                                        ; implicit-def: $vgpr5
                                        ; implicit-def: $vgpr6
	v_sub_nc_u32_e32 v4, 0, v0
                                        ; implicit-def: $vgpr0
	v_cmpx_ne_u32_e32 0, v40
	s_xor_b32 s5, exec_lo, s5
	s_cbranch_execz .LBB0_19
; %bb.18:
	v_mov_b32_e32 v41, 0
	v_lshlrev_b64 v[0:1], 3, v[40:41]
	v_add_co_u32 v0, s0, s1, v0
	v_add_co_ci_u32_e64 v1, s0, s4, v1, s0
	global_load_dwordx2 v[7:8], v[0:1], off
	ds_read_b64 v[0:1], v4 offset:10240
	s_waitcnt lgkmcnt(0)
	v_sub_f32_e32 v5, v2, v0
	v_add_f32_e32 v6, v1, v3
	v_sub_f32_e32 v1, v3, v1
	v_add_f32_e32 v0, v0, v2
	v_mul_f32_e32 v3, 0.5, v5
	v_mul_f32_e32 v2, 0.5, v6
	;; [unrolled: 1-line block ×3, first 2 shown]
	s_waitcnt vmcnt(0)
	v_mul_f32_e32 v6, v8, v3
	v_fma_f32 v9, v2, v8, v1
	v_fma_f32 v1, v2, v8, -v1
	v_fma_f32 v5, 0.5, v0, v6
	v_fma_f32 v0, v0, 0.5, -v6
	v_fma_f32 v6, -v7, v3, v9
	v_fma_f32 v1, -v7, v3, v1
	v_fmac_f32_e32 v5, v7, v2
	v_fma_f32 v0, -v7, v2, v0
                                        ; implicit-def: $vgpr2_vgpr3
.LBB0_19:
	s_andn2_saveexec_b32 s0, s5
	s_cbranch_execz .LBB0_21
; %bb.20:
	v_mov_b32_e32 v6, 0
	s_waitcnt lgkmcnt(0)
	v_add_f32_e32 v5, v2, v3
	v_sub_f32_e32 v0, v2, v3
	ds_read_b32 v1, v6 offset:5124
	s_waitcnt lgkmcnt(0)
	v_xor_b32_e32 v2, 0x80000000, v1
	v_mov_b32_e32 v1, 0
	ds_write_b32 v6, v2 offset:5124
.LBB0_21:
	s_or_b32 exec_lo, exec_lo, s0
	v_mov_b32_e32 v43, 0
	s_waitcnt lgkmcnt(0)
	v_lshlrev_b64 v[2:3], 3, v[42:43]
	v_mov_b32_e32 v50, v43
	v_add_nc_u32_e32 v42, 0x140, v40
	v_lshlrev_b64 v[7:8], 3, v[49:50]
	v_add_co_u32 v2, s0, s1, v2
	v_add_co_ci_u32_e64 v3, s0, s4, v3, s0
	v_mov_b32_e32 v49, v43
	v_add_co_u32 v7, s0, s1, v7
	global_load_dwordx2 v[2:3], v[2:3], off
	v_add_co_ci_u32_e64 v8, s0, s4, v8, s0
	v_lshlrev_b64 v[9:10], 3, v[48:49]
	v_lshlrev_b64 v[11:12], 3, v[42:43]
	v_add_nc_u32_e32 v42, 0x190, v40
	global_load_dwordx2 v[7:8], v[7:8], off
	v_add_co_u32 v9, s0, s1, v9
	v_add_co_ci_u32_e64 v10, s0, s4, v10, s0
	v_add_co_u32 v11, s0, s1, v11
	v_add_co_ci_u32_e64 v12, s0, s4, v12, s0
	global_load_dwordx2 v[9:10], v[9:10], off
	v_lshlrev_b64 v[13:14], 3, v[42:43]
	v_add_nc_u32_e32 v42, 0x1e0, v40
	global_load_dwordx2 v[11:12], v[11:12], off
	v_add_co_u32 v13, s0, s1, v13
	v_add_co_ci_u32_e64 v14, s0, s4, v14, s0
	v_lshlrev_b64 v[15:16], 3, v[42:43]
	v_add_nc_u32_e32 v42, 0x230, v40
	global_load_dwordx2 v[13:14], v[13:14], off
	v_add_co_u32 v15, s0, s1, v15
	v_add_co_ci_u32_e64 v16, s0, s4, v16, s0
	v_lshlrev_b64 v[17:18], 3, v[42:43]
	global_load_dwordx2 v[15:16], v[15:16], off
	ds_write2_b32 v58, v5, v6 offset1:1
	ds_write_b64 v4, v[0:1] offset:10240
	v_add_co_u32 v17, s0, s1, v17
	v_add_co_ci_u32_e64 v18, s0, s4, v18, s0
	global_load_dwordx2 v[17:18], v[17:18], off
	ds_read_b64 v[0:1], v60
	ds_read_b64 v[5:6], v4 offset:9600
	s_waitcnt lgkmcnt(0)
	v_sub_f32_e32 v19, v0, v5
	v_add_f32_e32 v20, v1, v6
	v_sub_f32_e32 v1, v1, v6
	v_add_f32_e32 v0, v0, v5
	v_mul_f32_e32 v6, 0.5, v19
	v_mul_f32_e32 v19, 0.5, v20
	v_mul_f32_e32 v1, 0.5, v1
	s_waitcnt vmcnt(6)
	v_mul_f32_e32 v5, v3, v6
	v_fma_f32 v20, v19, v3, v1
	v_fma_f32 v1, v19, v3, -v1
	v_fma_f32 v3, 0.5, v0, v5
	v_fma_f32 v0, v0, 0.5, -v5
	v_fma_f32 v5, -v2, v6, v20
	v_fma_f32 v1, -v2, v6, v1
	v_fmac_f32_e32 v3, v2, v19
	v_fma_f32 v0, -v2, v19, v0
	ds_write2_b32 v60, v3, v5 offset1:1
	ds_write_b64 v4, v[0:1] offset:9600
	ds_read_b64 v[0:1], v59
	ds_read_b64 v[2:3], v4 offset:8960
	s_waitcnt lgkmcnt(0)
	v_sub_f32_e32 v5, v0, v2
	v_add_f32_e32 v6, v1, v3
	v_sub_f32_e32 v1, v1, v3
	v_add_f32_e32 v0, v0, v2
	v_mul_f32_e32 v3, 0.5, v5
	v_mul_f32_e32 v5, 0.5, v6
	v_mul_f32_e32 v1, 0.5, v1
	s_waitcnt vmcnt(5)
	v_mul_f32_e32 v2, v8, v3
	v_fma_f32 v6, v5, v8, v1
	v_fma_f32 v1, v5, v8, -v1
	v_fma_f32 v8, 0.5, v0, v2
	v_fma_f32 v0, v0, 0.5, -v2
	v_fma_f32 v2, -v7, v3, v6
	v_fma_f32 v1, -v7, v3, v1
	v_fmac_f32_e32 v8, v7, v5
	v_fma_f32 v0, -v7, v5, v0
	ds_write2_b32 v59, v8, v2 offset1:1
	ds_write_b64 v4, v[0:1] offset:8960
	;; [unrolled: 22-line block ×3, first 2 shown]
	ds_read_b64 v[0:1], v58 offset:2560
	ds_read_b64 v[2:3], v4 offset:7680
	s_waitcnt lgkmcnt(0)
	v_sub_f32_e32 v5, v0, v2
	v_add_f32_e32 v6, v1, v3
	v_sub_f32_e32 v1, v1, v3
	v_add_f32_e32 v0, v0, v2
	v_mul_f32_e32 v3, 0.5, v5
	v_mul_f32_e32 v5, 0.5, v6
	;; [unrolled: 1-line block ×3, first 2 shown]
	s_waitcnt vmcnt(3)
	v_mul_f32_e32 v2, v12, v3
	v_fma_f32 v6, v5, v12, v1
	v_fma_f32 v1, v5, v12, -v1
	v_fma_f32 v7, 0.5, v0, v2
	v_fma_f32 v8, v0, 0.5, -v2
	v_add_nc_u32_e32 v0, 0x800, v58
	v_fma_f32 v6, -v11, v3, v6
	v_fma_f32 v2, -v11, v3, v1
	v_fmac_f32_e32 v7, v11, v5
	v_fma_f32 v1, -v11, v5, v8
	ds_write2_b32 v0, v7, v6 offset0:128 offset1:129
	ds_write_b64 v4, v[1:2] offset:7680
	ds_read_b64 v[1:2], v58 offset:3200
	ds_read_b64 v[5:6], v4 offset:7040
	s_waitcnt lgkmcnt(0)
	v_sub_f32_e32 v3, v1, v5
	v_add_f32_e32 v7, v2, v6
	v_sub_f32_e32 v2, v2, v6
	v_add_f32_e32 v1, v1, v5
	v_mul_f32_e32 v3, 0.5, v3
	v_mul_f32_e32 v6, 0.5, v7
	;; [unrolled: 1-line block ×3, first 2 shown]
	s_waitcnt vmcnt(2)
	v_mul_f32_e32 v5, v14, v3
	v_fma_f32 v7, v6, v14, v2
	v_fma_f32 v2, v6, v14, -v2
	v_fma_f32 v8, 0.5, v1, v5
	v_fma_f32 v5, v1, 0.5, -v5
	v_add_nc_u32_e32 v1, 0xc00, v58
	v_fma_f32 v7, -v13, v3, v7
	v_fma_f32 v3, -v13, v3, v2
	v_fmac_f32_e32 v8, v13, v6
	v_fma_f32 v2, -v13, v6, v5
	ds_write2_b32 v1, v8, v7 offset0:32 offset1:33
	ds_write_b64 v4, v[2:3] offset:7040
	ds_read_b64 v[2:3], v58 offset:3840
	ds_read_b64 v[5:6], v4 offset:6400
	s_waitcnt lgkmcnt(0)
	v_sub_f32_e32 v7, v2, v5
	v_add_f32_e32 v8, v3, v6
	v_sub_f32_e32 v3, v3, v6
	v_add_f32_e32 v2, v2, v5
	v_mul_f32_e32 v6, 0.5, v7
	v_mul_f32_e32 v7, 0.5, v8
	;; [unrolled: 1-line block ×3, first 2 shown]
	s_waitcnt vmcnt(1)
	v_mul_f32_e32 v5, v16, v6
	v_fma_f32 v8, v7, v16, v3
	v_fma_f32 v3, v7, v16, -v3
	v_fma_f32 v9, 0.5, v2, v5
	v_fma_f32 v2, v2, 0.5, -v5
	v_fma_f32 v5, -v15, v6, v8
	v_fma_f32 v3, -v15, v6, v3
	v_fmac_f32_e32 v9, v15, v7
	v_fma_f32 v2, -v15, v7, v2
	ds_write2_b32 v1, v9, v5 offset0:192 offset1:193
	ds_write_b64 v4, v[2:3] offset:6400
	ds_read_b64 v[2:3], v58 offset:4480
	ds_read_b64 v[5:6], v4 offset:5760
	s_waitcnt lgkmcnt(0)
	v_sub_f32_e32 v7, v2, v5
	v_add_f32_e32 v8, v3, v6
	v_sub_f32_e32 v3, v3, v6
	v_add_f32_e32 v2, v2, v5
	v_mul_f32_e32 v6, 0.5, v7
	v_mul_f32_e32 v7, 0.5, v8
	;; [unrolled: 1-line block ×3, first 2 shown]
	s_waitcnt vmcnt(0)
	v_mul_f32_e32 v5, v18, v6
	v_fma_f32 v8, v7, v18, v3
	v_fma_f32 v3, v7, v18, -v3
	v_fma_f32 v9, 0.5, v2, v5
	v_fma_f32 v2, v2, 0.5, -v5
	v_add_nc_u32_e32 v5, 0x1000, v58
	v_fma_f32 v8, -v17, v6, v8
	v_fma_f32 v3, -v17, v6, v3
	v_fmac_f32_e32 v9, v17, v7
	v_fma_f32 v2, -v17, v7, v2
	ds_write2_b32 v5, v9, v8 offset0:96 offset1:97
	ds_write_b64 v4, v[2:3] offset:5760
	s_waitcnt lgkmcnt(0)
	s_barrier
	buffer_gl0_inv
	s_and_saveexec_b32 s0, vcc_lo
	s_cbranch_execz .LBB0_24
; %bb.22:
	ds_read2_b64 v[6:9], v58 offset1:80
	v_mov_b32_e32 v41, v43
	ds_read2_b64 v[10:13], v58 offset0:160 offset1:240
	v_add_co_u32 v2, vcc_lo, s2, v46
	v_add_co_ci_u32_e32 v3, vcc_lo, s3, v47, vcc_lo
	v_lshlrev_b64 v[14:15], 3, v[40:41]
	v_mov_b32_e32 v45, v43
	v_add_nc_u32_e32 v22, 0x1c00, v58
	v_add_nc_u32_e32 v26, 0x2000, v58
	v_add_co_u32 v30, vcc_lo, v2, v14
	v_add_co_ci_u32_e32 v31, vcc_lo, v3, v15, vcc_lo
	ds_read2_b64 v[14:17], v0 offset0:64 offset1:144
	ds_read2_b64 v[18:21], v1 offset0:96 offset1:176
	v_add_co_u32 v0, vcc_lo, 0x800, v30
	s_waitcnt lgkmcnt(3)
	global_store_dwordx2 v[30:31], v[6:7], off
	global_store_dwordx2 v[30:31], v[8:9], off offset:640
	s_waitcnt lgkmcnt(2)
	global_store_dwordx2 v[30:31], v[10:11], off offset:1280
	global_store_dwordx2 v[30:31], v[12:13], off offset:1920
	ds_read2_b64 v[4:7], v5 offset0:128 offset1:208
	v_add_nc_u32_e32 v8, 0x1800, v58
	v_lshlrev_b64 v[12:13], 3, v[44:45]
	v_add_co_ci_u32_e32 v1, vcc_lo, 0, v31, vcc_lo
	ds_read2_b64 v[8:11], v8 offset0:32 offset1:112
	ds_read2_b64 v[22:25], v22 offset0:64 offset1:144
	ds_read2_b64 v[26:29], v26 offset0:96 offset1:176
	v_add_co_u32 v32, vcc_lo, 0x1000, v30
	v_add_co_ci_u32_e32 v33, vcc_lo, 0, v31, vcc_lo
	v_add_co_u32 v12, vcc_lo, v2, v12
	v_add_co_ci_u32_e32 v13, vcc_lo, v3, v13, vcc_lo
	s_waitcnt lgkmcnt(5)
	global_store_dwordx2 v[0:1], v[14:15], off offset:512
	global_store_dwordx2 v[0:1], v[16:17], off offset:1152
	s_waitcnt lgkmcnt(4)
	global_store_dwordx2 v[0:1], v[18:19], off offset:1792
	global_store_dwordx2 v[32:33], v[20:21], off offset:384
	s_waitcnt lgkmcnt(3)
	global_store_dwordx2 v[12:13], v[4:5], off
	global_store_dwordx2 v[32:33], v[6:7], off offset:1664
	v_add_co_u32 v0, vcc_lo, 0x1800, v30
	v_add_co_ci_u32_e32 v1, vcc_lo, 0, v31, vcc_lo
	v_add_co_u32 v4, vcc_lo, 0x2000, v30
	v_add_co_ci_u32_e32 v5, vcc_lo, 0, v31, vcc_lo
	v_cmp_eq_u32_e32 vcc_lo, 0x4f, v40
	s_waitcnt lgkmcnt(2)
	global_store_dwordx2 v[0:1], v[8:9], off offset:256
	global_store_dwordx2 v[0:1], v[10:11], off offset:896
	s_waitcnt lgkmcnt(1)
	global_store_dwordx2 v[0:1], v[22:23], off offset:1536
	global_store_dwordx2 v[4:5], v[24:25], off offset:128
	;; [unrolled: 3-line block ×3, first 2 shown]
	s_and_b32 exec_lo, exec_lo, vcc_lo
	s_cbranch_execz .LBB0_24
; %bb.23:
	v_mov_b32_e32 v0, 0
	v_add_co_u32 v2, vcc_lo, 0x2800, v2
	v_add_co_ci_u32_e32 v3, vcc_lo, 0, v3, vcc_lo
	ds_read_b64 v[0:1], v0 offset:10240
	s_waitcnt lgkmcnt(0)
	global_store_dwordx2 v[2:3], v[0:1], off
.LBB0_24:
	s_endpgm
	.section	.rodata,"a",@progbits
	.p2align	6, 0x0
	.amdhsa_kernel fft_rtc_fwd_len1280_factors_16_5_16_wgs_80_tpt_80_halfLds_sp_ip_CI_unitstride_sbrr_R2C_dirReg
		.amdhsa_group_segment_fixed_size 0
		.amdhsa_private_segment_fixed_size 0
		.amdhsa_kernarg_size 88
		.amdhsa_user_sgpr_count 6
		.amdhsa_user_sgpr_private_segment_buffer 1
		.amdhsa_user_sgpr_dispatch_ptr 0
		.amdhsa_user_sgpr_queue_ptr 0
		.amdhsa_user_sgpr_kernarg_segment_ptr 1
		.amdhsa_user_sgpr_dispatch_id 0
		.amdhsa_user_sgpr_flat_scratch_init 0
		.amdhsa_user_sgpr_private_segment_size 0
		.amdhsa_wavefront_size32 1
		.amdhsa_uses_dynamic_stack 0
		.amdhsa_system_sgpr_private_segment_wavefront_offset 0
		.amdhsa_system_sgpr_workgroup_id_x 1
		.amdhsa_system_sgpr_workgroup_id_y 0
		.amdhsa_system_sgpr_workgroup_id_z 0
		.amdhsa_system_sgpr_workgroup_info 0
		.amdhsa_system_vgpr_workitem_id 0
		.amdhsa_next_free_vgpr 95
		.amdhsa_next_free_sgpr 21
		.amdhsa_reserve_vcc 1
		.amdhsa_reserve_flat_scratch 0
		.amdhsa_float_round_mode_32 0
		.amdhsa_float_round_mode_16_64 0
		.amdhsa_float_denorm_mode_32 3
		.amdhsa_float_denorm_mode_16_64 3
		.amdhsa_dx10_clamp 1
		.amdhsa_ieee_mode 1
		.amdhsa_fp16_overflow 0
		.amdhsa_workgroup_processor_mode 1
		.amdhsa_memory_ordered 1
		.amdhsa_forward_progress 0
		.amdhsa_shared_vgpr_count 0
		.amdhsa_exception_fp_ieee_invalid_op 0
		.amdhsa_exception_fp_denorm_src 0
		.amdhsa_exception_fp_ieee_div_zero 0
		.amdhsa_exception_fp_ieee_overflow 0
		.amdhsa_exception_fp_ieee_underflow 0
		.amdhsa_exception_fp_ieee_inexact 0
		.amdhsa_exception_int_div_zero 0
	.end_amdhsa_kernel
	.text
.Lfunc_end0:
	.size	fft_rtc_fwd_len1280_factors_16_5_16_wgs_80_tpt_80_halfLds_sp_ip_CI_unitstride_sbrr_R2C_dirReg, .Lfunc_end0-fft_rtc_fwd_len1280_factors_16_5_16_wgs_80_tpt_80_halfLds_sp_ip_CI_unitstride_sbrr_R2C_dirReg
                                        ; -- End function
	.section	.AMDGPU.csdata,"",@progbits
; Kernel info:
; codeLenInByte = 8584
; NumSgprs: 23
; NumVgprs: 95
; ScratchSize: 0
; MemoryBound: 0
; FloatMode: 240
; IeeeMode: 1
; LDSByteSize: 0 bytes/workgroup (compile time only)
; SGPRBlocks: 2
; VGPRBlocks: 11
; NumSGPRsForWavesPerEU: 23
; NumVGPRsForWavesPerEU: 95
; Occupancy: 10
; WaveLimiterHint : 1
; COMPUTE_PGM_RSRC2:SCRATCH_EN: 0
; COMPUTE_PGM_RSRC2:USER_SGPR: 6
; COMPUTE_PGM_RSRC2:TRAP_HANDLER: 0
; COMPUTE_PGM_RSRC2:TGID_X_EN: 1
; COMPUTE_PGM_RSRC2:TGID_Y_EN: 0
; COMPUTE_PGM_RSRC2:TGID_Z_EN: 0
; COMPUTE_PGM_RSRC2:TIDIG_COMP_CNT: 0
	.text
	.p2alignl 6, 3214868480
	.fill 48, 4, 3214868480
	.type	__hip_cuid_bc9789890424acfc,@object ; @__hip_cuid_bc9789890424acfc
	.section	.bss,"aw",@nobits
	.globl	__hip_cuid_bc9789890424acfc
__hip_cuid_bc9789890424acfc:
	.byte	0                               ; 0x0
	.size	__hip_cuid_bc9789890424acfc, 1

	.ident	"AMD clang version 19.0.0git (https://github.com/RadeonOpenCompute/llvm-project roc-6.4.0 25133 c7fe45cf4b819c5991fe208aaa96edf142730f1d)"
	.section	".note.GNU-stack","",@progbits
	.addrsig
	.addrsig_sym __hip_cuid_bc9789890424acfc
	.amdgpu_metadata
---
amdhsa.kernels:
  - .args:
      - .actual_access:  read_only
        .address_space:  global
        .offset:         0
        .size:           8
        .value_kind:     global_buffer
      - .offset:         8
        .size:           8
        .value_kind:     by_value
      - .actual_access:  read_only
        .address_space:  global
        .offset:         16
        .size:           8
        .value_kind:     global_buffer
      - .actual_access:  read_only
        .address_space:  global
        .offset:         24
        .size:           8
        .value_kind:     global_buffer
      - .offset:         32
        .size:           8
        .value_kind:     by_value
      - .actual_access:  read_only
        .address_space:  global
        .offset:         40
        .size:           8
        .value_kind:     global_buffer
      - .actual_access:  read_only
        .address_space:  global
        .offset:         48
        .size:           8
        .value_kind:     global_buffer
      - .offset:         56
        .size:           4
        .value_kind:     by_value
      - .actual_access:  read_only
        .address_space:  global
        .offset:         64
        .size:           8
        .value_kind:     global_buffer
      - .actual_access:  read_only
        .address_space:  global
        .offset:         72
        .size:           8
        .value_kind:     global_buffer
      - .address_space:  global
        .offset:         80
        .size:           8
        .value_kind:     global_buffer
    .group_segment_fixed_size: 0
    .kernarg_segment_align: 8
    .kernarg_segment_size: 88
    .language:       OpenCL C
    .language_version:
      - 2
      - 0
    .max_flat_workgroup_size: 80
    .name:           fft_rtc_fwd_len1280_factors_16_5_16_wgs_80_tpt_80_halfLds_sp_ip_CI_unitstride_sbrr_R2C_dirReg
    .private_segment_fixed_size: 0
    .sgpr_count:     23
    .sgpr_spill_count: 0
    .symbol:         fft_rtc_fwd_len1280_factors_16_5_16_wgs_80_tpt_80_halfLds_sp_ip_CI_unitstride_sbrr_R2C_dirReg.kd
    .uniform_work_group_size: 1
    .uses_dynamic_stack: false
    .vgpr_count:     95
    .vgpr_spill_count: 0
    .wavefront_size: 32
    .workgroup_processor_mode: 1
amdhsa.target:   amdgcn-amd-amdhsa--gfx1030
amdhsa.version:
  - 1
  - 2
...

	.end_amdgpu_metadata
